;; amdgpu-corpus repo=ROCm/rocFFT kind=compiled arch=gfx1100 opt=O3
	.text
	.amdgcn_target "amdgcn-amd-amdhsa--gfx1100"
	.amdhsa_code_object_version 6
	.protected	fft_rtc_fwd_len195_factors_13_5_3_wgs_52_tpt_13_dp_ip_CI_unitstride_sbrr_dirReg ; -- Begin function fft_rtc_fwd_len195_factors_13_5_3_wgs_52_tpt_13_dp_ip_CI_unitstride_sbrr_dirReg
	.globl	fft_rtc_fwd_len195_factors_13_5_3_wgs_52_tpt_13_dp_ip_CI_unitstride_sbrr_dirReg
	.p2align	8
	.type	fft_rtc_fwd_len195_factors_13_5_3_wgs_52_tpt_13_dp_ip_CI_unitstride_sbrr_dirReg,@function
fft_rtc_fwd_len195_factors_13_5_3_wgs_52_tpt_13_dp_ip_CI_unitstride_sbrr_dirReg: ; @fft_rtc_fwd_len195_factors_13_5_3_wgs_52_tpt_13_dp_ip_CI_unitstride_sbrr_dirReg
; %bb.0:
	s_clause 0x2
	s_load_b128 s[4:7], s[0:1], 0x0
	s_load_b64 s[8:9], s[0:1], 0x50
	s_load_b64 s[10:11], s[0:1], 0x18
	v_mul_u32_u24_e32 v1, 0x13b2, v0
	v_mov_b32_e32 v3, 0
	v_mov_b32_e32 v4, 0
	s_delay_alu instid0(VALU_DEP_3) | instskip(SKIP_1) | instid1(VALU_DEP_2)
	v_lshrrev_b32_e32 v9, 16, v1
	v_mov_b32_e32 v1, 0
	v_lshl_add_u32 v5, s15, 2, v9
	s_delay_alu instid0(VALU_DEP_2) | instskip(SKIP_2) | instid1(VALU_DEP_1)
	v_mov_b32_e32 v6, v1
	s_waitcnt lgkmcnt(0)
	v_cmp_lt_u64_e64 s2, s[6:7], 2
	s_and_b32 vcc_lo, exec_lo, s2
	s_cbranch_vccnz .LBB0_8
; %bb.1:
	s_load_b64 s[2:3], s[0:1], 0x10
	v_mov_b32_e32 v3, 0
	s_add_u32 s12, s10, 8
	v_mov_b32_e32 v4, 0
	s_addc_u32 s13, s11, 0
	s_mov_b64 s[16:17], 1
	s_waitcnt lgkmcnt(0)
	s_add_u32 s14, s2, 8
	s_addc_u32 s15, s3, 0
.LBB0_2:                                ; =>This Inner Loop Header: Depth=1
	s_load_b64 s[18:19], s[14:15], 0x0
                                        ; implicit-def: $vgpr7_vgpr8
	s_mov_b32 s2, exec_lo
	s_waitcnt lgkmcnt(0)
	v_or_b32_e32 v2, s19, v6
	s_delay_alu instid0(VALU_DEP_1)
	v_cmpx_ne_u64_e32 0, v[1:2]
	s_xor_b32 s3, exec_lo, s2
	s_cbranch_execz .LBB0_4
; %bb.3:                                ;   in Loop: Header=BB0_2 Depth=1
	v_cvt_f32_u32_e32 v2, s18
	v_cvt_f32_u32_e32 v7, s19
	s_sub_u32 s2, 0, s18
	s_subb_u32 s20, 0, s19
	s_delay_alu instid0(VALU_DEP_1) | instskip(NEXT) | instid1(VALU_DEP_1)
	v_fmac_f32_e32 v2, 0x4f800000, v7
	v_rcp_f32_e32 v2, v2
	s_waitcnt_depctr 0xfff
	v_mul_f32_e32 v2, 0x5f7ffffc, v2
	s_delay_alu instid0(VALU_DEP_1) | instskip(NEXT) | instid1(VALU_DEP_1)
	v_mul_f32_e32 v7, 0x2f800000, v2
	v_trunc_f32_e32 v7, v7
	s_delay_alu instid0(VALU_DEP_1) | instskip(SKIP_1) | instid1(VALU_DEP_2)
	v_fmac_f32_e32 v2, 0xcf800000, v7
	v_cvt_u32_f32_e32 v7, v7
	v_cvt_u32_f32_e32 v2, v2
	s_delay_alu instid0(VALU_DEP_2) | instskip(NEXT) | instid1(VALU_DEP_2)
	v_mul_lo_u32 v8, s2, v7
	v_mul_hi_u32 v10, s2, v2
	v_mul_lo_u32 v11, s20, v2
	s_delay_alu instid0(VALU_DEP_2) | instskip(SKIP_1) | instid1(VALU_DEP_2)
	v_add_nc_u32_e32 v8, v10, v8
	v_mul_lo_u32 v10, s2, v2
	v_add_nc_u32_e32 v8, v8, v11
	s_delay_alu instid0(VALU_DEP_2) | instskip(NEXT) | instid1(VALU_DEP_2)
	v_mul_hi_u32 v11, v2, v10
	v_mul_lo_u32 v12, v2, v8
	v_mul_hi_u32 v13, v2, v8
	v_mul_hi_u32 v14, v7, v10
	v_mul_lo_u32 v10, v7, v10
	v_mul_hi_u32 v15, v7, v8
	v_mul_lo_u32 v8, v7, v8
	v_add_co_u32 v11, vcc_lo, v11, v12
	v_add_co_ci_u32_e32 v12, vcc_lo, 0, v13, vcc_lo
	s_delay_alu instid0(VALU_DEP_2) | instskip(NEXT) | instid1(VALU_DEP_2)
	v_add_co_u32 v10, vcc_lo, v11, v10
	v_add_co_ci_u32_e32 v10, vcc_lo, v12, v14, vcc_lo
	v_add_co_ci_u32_e32 v11, vcc_lo, 0, v15, vcc_lo
	s_delay_alu instid0(VALU_DEP_2) | instskip(NEXT) | instid1(VALU_DEP_2)
	v_add_co_u32 v8, vcc_lo, v10, v8
	v_add_co_ci_u32_e32 v10, vcc_lo, 0, v11, vcc_lo
	s_delay_alu instid0(VALU_DEP_2) | instskip(NEXT) | instid1(VALU_DEP_2)
	v_add_co_u32 v2, vcc_lo, v2, v8
	v_add_co_ci_u32_e32 v7, vcc_lo, v7, v10, vcc_lo
	s_delay_alu instid0(VALU_DEP_2) | instskip(SKIP_1) | instid1(VALU_DEP_3)
	v_mul_hi_u32 v8, s2, v2
	v_mul_lo_u32 v11, s20, v2
	v_mul_lo_u32 v10, s2, v7
	s_delay_alu instid0(VALU_DEP_1) | instskip(SKIP_1) | instid1(VALU_DEP_2)
	v_add_nc_u32_e32 v8, v8, v10
	v_mul_lo_u32 v10, s2, v2
	v_add_nc_u32_e32 v8, v8, v11
	s_delay_alu instid0(VALU_DEP_2) | instskip(NEXT) | instid1(VALU_DEP_2)
	v_mul_hi_u32 v11, v2, v10
	v_mul_lo_u32 v12, v2, v8
	v_mul_hi_u32 v13, v2, v8
	v_mul_hi_u32 v14, v7, v10
	v_mul_lo_u32 v10, v7, v10
	v_mul_hi_u32 v15, v7, v8
	v_mul_lo_u32 v8, v7, v8
	v_add_co_u32 v11, vcc_lo, v11, v12
	v_add_co_ci_u32_e32 v12, vcc_lo, 0, v13, vcc_lo
	s_delay_alu instid0(VALU_DEP_2) | instskip(NEXT) | instid1(VALU_DEP_2)
	v_add_co_u32 v10, vcc_lo, v11, v10
	v_add_co_ci_u32_e32 v10, vcc_lo, v12, v14, vcc_lo
	v_add_co_ci_u32_e32 v11, vcc_lo, 0, v15, vcc_lo
	s_delay_alu instid0(VALU_DEP_2) | instskip(NEXT) | instid1(VALU_DEP_2)
	v_add_co_u32 v8, vcc_lo, v10, v8
	v_add_co_ci_u32_e32 v10, vcc_lo, 0, v11, vcc_lo
	s_delay_alu instid0(VALU_DEP_2) | instskip(NEXT) | instid1(VALU_DEP_2)
	v_add_co_u32 v2, vcc_lo, v2, v8
	v_add_co_ci_u32_e32 v14, vcc_lo, v7, v10, vcc_lo
	s_delay_alu instid0(VALU_DEP_2) | instskip(SKIP_1) | instid1(VALU_DEP_3)
	v_mul_hi_u32 v15, v5, v2
	v_mad_u64_u32 v[10:11], null, v6, v2, 0
	v_mad_u64_u32 v[7:8], null, v5, v14, 0
	;; [unrolled: 1-line block ×3, first 2 shown]
	s_delay_alu instid0(VALU_DEP_2) | instskip(NEXT) | instid1(VALU_DEP_3)
	v_add_co_u32 v2, vcc_lo, v15, v7
	v_add_co_ci_u32_e32 v7, vcc_lo, 0, v8, vcc_lo
	s_delay_alu instid0(VALU_DEP_2) | instskip(NEXT) | instid1(VALU_DEP_2)
	v_add_co_u32 v2, vcc_lo, v2, v10
	v_add_co_ci_u32_e32 v2, vcc_lo, v7, v11, vcc_lo
	v_add_co_ci_u32_e32 v7, vcc_lo, 0, v13, vcc_lo
	s_delay_alu instid0(VALU_DEP_2) | instskip(NEXT) | instid1(VALU_DEP_2)
	v_add_co_u32 v2, vcc_lo, v2, v12
	v_add_co_ci_u32_e32 v10, vcc_lo, 0, v7, vcc_lo
	s_delay_alu instid0(VALU_DEP_2) | instskip(SKIP_1) | instid1(VALU_DEP_3)
	v_mul_lo_u32 v11, s19, v2
	v_mad_u64_u32 v[7:8], null, s18, v2, 0
	v_mul_lo_u32 v12, s18, v10
	s_delay_alu instid0(VALU_DEP_2) | instskip(NEXT) | instid1(VALU_DEP_2)
	v_sub_co_u32 v7, vcc_lo, v5, v7
	v_add3_u32 v8, v8, v12, v11
	s_delay_alu instid0(VALU_DEP_1) | instskip(NEXT) | instid1(VALU_DEP_1)
	v_sub_nc_u32_e32 v11, v6, v8
	v_subrev_co_ci_u32_e64 v11, s2, s19, v11, vcc_lo
	v_add_co_u32 v12, s2, v2, 2
	s_delay_alu instid0(VALU_DEP_1) | instskip(SKIP_3) | instid1(VALU_DEP_3)
	v_add_co_ci_u32_e64 v13, s2, 0, v10, s2
	v_sub_co_u32 v14, s2, v7, s18
	v_sub_co_ci_u32_e32 v8, vcc_lo, v6, v8, vcc_lo
	v_subrev_co_ci_u32_e64 v11, s2, 0, v11, s2
	v_cmp_le_u32_e32 vcc_lo, s18, v14
	s_delay_alu instid0(VALU_DEP_3) | instskip(SKIP_1) | instid1(VALU_DEP_4)
	v_cmp_eq_u32_e64 s2, s19, v8
	v_cndmask_b32_e64 v14, 0, -1, vcc_lo
	v_cmp_le_u32_e32 vcc_lo, s19, v11
	v_cndmask_b32_e64 v15, 0, -1, vcc_lo
	v_cmp_le_u32_e32 vcc_lo, s18, v7
	;; [unrolled: 2-line block ×3, first 2 shown]
	v_cndmask_b32_e64 v16, 0, -1, vcc_lo
	v_cmp_eq_u32_e32 vcc_lo, s19, v11
	s_delay_alu instid0(VALU_DEP_2) | instskip(SKIP_3) | instid1(VALU_DEP_3)
	v_cndmask_b32_e64 v7, v16, v7, s2
	v_cndmask_b32_e32 v11, v15, v14, vcc_lo
	v_add_co_u32 v14, vcc_lo, v2, 1
	v_add_co_ci_u32_e32 v15, vcc_lo, 0, v10, vcc_lo
	v_cmp_ne_u32_e32 vcc_lo, 0, v11
	s_delay_alu instid0(VALU_DEP_2) | instskip(SKIP_1) | instid1(VALU_DEP_2)
	v_dual_cndmask_b32 v8, v15, v13 :: v_dual_cndmask_b32 v11, v14, v12
	v_cmp_ne_u32_e32 vcc_lo, 0, v7
	v_cndmask_b32_e32 v7, v2, v11, vcc_lo
	s_delay_alu instid0(VALU_DEP_3)
	v_cndmask_b32_e32 v8, v10, v8, vcc_lo
.LBB0_4:                                ;   in Loop: Header=BB0_2 Depth=1
	s_and_not1_saveexec_b32 s2, s3
	s_cbranch_execz .LBB0_6
; %bb.5:                                ;   in Loop: Header=BB0_2 Depth=1
	v_cvt_f32_u32_e32 v2, s18
	s_sub_i32 s3, 0, s18
	s_delay_alu instid0(VALU_DEP_1) | instskip(SKIP_2) | instid1(VALU_DEP_1)
	v_rcp_iflag_f32_e32 v2, v2
	s_waitcnt_depctr 0xfff
	v_mul_f32_e32 v2, 0x4f7ffffe, v2
	v_cvt_u32_f32_e32 v2, v2
	s_delay_alu instid0(VALU_DEP_1) | instskip(NEXT) | instid1(VALU_DEP_1)
	v_mul_lo_u32 v7, s3, v2
	v_mul_hi_u32 v7, v2, v7
	s_delay_alu instid0(VALU_DEP_1) | instskip(NEXT) | instid1(VALU_DEP_1)
	v_add_nc_u32_e32 v2, v2, v7
	v_mul_hi_u32 v2, v5, v2
	s_delay_alu instid0(VALU_DEP_1) | instskip(SKIP_1) | instid1(VALU_DEP_2)
	v_mul_lo_u32 v7, v2, s18
	v_add_nc_u32_e32 v8, 1, v2
	v_sub_nc_u32_e32 v7, v5, v7
	s_delay_alu instid0(VALU_DEP_1) | instskip(SKIP_1) | instid1(VALU_DEP_2)
	v_subrev_nc_u32_e32 v10, s18, v7
	v_cmp_le_u32_e32 vcc_lo, s18, v7
	v_dual_cndmask_b32 v7, v7, v10 :: v_dual_cndmask_b32 v2, v2, v8
	s_delay_alu instid0(VALU_DEP_1) | instskip(NEXT) | instid1(VALU_DEP_2)
	v_cmp_le_u32_e32 vcc_lo, s18, v7
	v_add_nc_u32_e32 v8, 1, v2
	s_delay_alu instid0(VALU_DEP_1)
	v_dual_cndmask_b32 v7, v2, v8 :: v_dual_mov_b32 v8, v1
.LBB0_6:                                ;   in Loop: Header=BB0_2 Depth=1
	s_or_b32 exec_lo, exec_lo, s2
	s_load_b64 s[2:3], s[12:13], 0x0
	s_delay_alu instid0(VALU_DEP_1) | instskip(NEXT) | instid1(VALU_DEP_2)
	v_mul_lo_u32 v2, v8, s18
	v_mul_lo_u32 v12, v7, s19
	v_mad_u64_u32 v[10:11], null, v7, s18, 0
	s_add_u32 s16, s16, 1
	s_addc_u32 s17, s17, 0
	s_add_u32 s12, s12, 8
	s_addc_u32 s13, s13, 0
	;; [unrolled: 2-line block ×3, first 2 shown]
	s_delay_alu instid0(VALU_DEP_1) | instskip(SKIP_1) | instid1(VALU_DEP_2)
	v_add3_u32 v2, v11, v12, v2
	v_sub_co_u32 v10, vcc_lo, v5, v10
	v_sub_co_ci_u32_e32 v2, vcc_lo, v6, v2, vcc_lo
	s_waitcnt lgkmcnt(0)
	s_delay_alu instid0(VALU_DEP_2) | instskip(NEXT) | instid1(VALU_DEP_2)
	v_mul_lo_u32 v11, s3, v10
	v_mul_lo_u32 v2, s2, v2
	v_mad_u64_u32 v[5:6], null, s2, v10, v[3:4]
	v_cmp_ge_u64_e64 s2, s[16:17], s[6:7]
	s_delay_alu instid0(VALU_DEP_1) | instskip(NEXT) | instid1(VALU_DEP_2)
	s_and_b32 vcc_lo, exec_lo, s2
	v_add3_u32 v4, v11, v6, v2
	s_delay_alu instid0(VALU_DEP_3)
	v_mov_b32_e32 v3, v5
	s_cbranch_vccnz .LBB0_9
; %bb.7:                                ;   in Loop: Header=BB0_2 Depth=1
	v_dual_mov_b32 v5, v7 :: v_dual_mov_b32 v6, v8
	s_branch .LBB0_2
.LBB0_8:
	v_dual_mov_b32 v8, v6 :: v_dual_mov_b32 v7, v5
.LBB0_9:
	s_lshl_b64 s[2:3], s[6:7], 3
	v_mul_hi_u32 v1, 0x13b13b14, v0
	s_add_u32 s2, s10, s2
	s_addc_u32 s3, s11, s3
	s_load_b64 s[2:3], s[2:3], 0x0
	s_load_b64 s[0:1], s[0:1], 0x20
	s_delay_alu instid0(VALU_DEP_1) | instskip(NEXT) | instid1(VALU_DEP_1)
	v_mul_u32_u24_e32 v5, 13, v1
	v_sub_nc_u32_e32 v84, v0, v5
	v_and_b32_e32 v0, 3, v9
	s_waitcnt lgkmcnt(0)
	v_mul_lo_u32 v6, s2, v8
	v_mul_lo_u32 v10, s3, v7
	v_mad_u64_u32 v[1:2], null, s2, v7, v[3:4]
	v_cmp_gt_u64_e32 vcc_lo, s[0:1], v[7:8]
	v_cmp_le_u64_e64 s0, s[0:1], v[7:8]
	v_add_nc_u32_e32 v3, 13, v84
	s_delay_alu instid0(VALU_DEP_4) | instskip(SKIP_2) | instid1(SALU_CYCLE_1)
	v_add3_u32 v2, v10, v2, v6
	scratch_store_b32 off, v3, off          ; 4-byte Folded Spill
	s_and_saveexec_b32 s1, s0
	s_xor_b32 s0, exec_lo, s1
	s_cbranch_execz .LBB0_11
; %bb.10:
	v_add_nc_u32_e32 v3, 13, v84
	scratch_store_b32 off, v3, off          ; 4-byte Folded Spill
.LBB0_11:
	s_or_saveexec_b32 s1, s0
	v_mul_u32_u24_e32 v0, 0xc3, v0
	v_lshlrev_b64 v[1:2], 4, v[1:2]
	s_delay_alu instid0(VALU_DEP_2)
	v_lshlrev_b32_e32 v86, 4, v0
	v_lshlrev_b32_e32 v0, 4, v84
	scratch_store_b64 off, v[1:2], off offset:4 ; 8-byte Folded Spill
	s_xor_b32 exec_lo, exec_lo, s1
	s_cbranch_execz .LBB0_13
; %bb.12:
	scratch_load_b64 v[3:4], off, off offset:4 ; 8-byte Folded Reload
	v_mov_b32_e32 v85, 0
	v_add3_u32 v61, 0, v86, v0
	s_delay_alu instid0(VALU_DEP_2) | instskip(SKIP_2) | instid1(VALU_DEP_1)
	v_lshlrev_b64 v[1:2], 4, v[84:85]
	s_waitcnt vmcnt(0)
	v_add_co_u32 v3, s0, s8, v3
	v_add_co_ci_u32_e64 v4, s0, s9, v4, s0
	s_delay_alu instid0(VALU_DEP_2) | instskip(NEXT) | instid1(VALU_DEP_1)
	v_add_co_u32 v57, s0, v3, v1
	v_add_co_ci_u32_e64 v58, s0, v4, v2, s0
	s_clause 0xe
	global_load_b128 v[1:4], v[57:58], off
	global_load_b128 v[5:8], v[57:58], off offset:208
	global_load_b128 v[9:12], v[57:58], off offset:416
	;; [unrolled: 1-line block ×14, first 2 shown]
	s_waitcnt vmcnt(14)
	ds_store_b128 v61, v[1:4]
	s_waitcnt vmcnt(13)
	ds_store_b128 v61, v[5:8] offset:208
	s_waitcnt vmcnt(12)
	ds_store_b128 v61, v[9:12] offset:416
	;; [unrolled: 2-line block ×14, first 2 shown]
.LBB0_13:
	s_or_b32 exec_lo, exec_lo, s1
	v_add_nc_u32_e32 v1, 0, v0
	v_add_nc_u32_e32 v95, 0, v86
	s_waitcnt lgkmcnt(0)
	s_waitcnt_vscnt null, 0x0
	s_barrier
	buffer_gl0_inv
	v_add_nc_u32_e32 v85, v1, v86
	v_add_nc_u32_e32 v92, v95, v0
	s_mov_b32 s2, 0x4267c47c
	s_mov_b32 s20, 0x42a4c3d2
	;; [unrolled: 1-line block ×3, first 2 shown]
	ds_load_b128 v[56:59], v85 offset:240
	ds_load_b128 v[52:55], v92
	ds_load_b128 v[0:3], v85 offset:208
	ds_load_b128 v[20:23], v85 offset:448
	;; [unrolled: 1-line block ×6, first 2 shown]
	s_mov_b32 s26, 0x2ef20147
	s_mov_b32 s10, 0x24c2f84
	;; [unrolled: 1-line block ×15, first 2 shown]
	s_waitcnt lgkmcnt(6)
	v_add_f64 v[4:5], v[52:53], v[56:57]
	v_add_f64 v[6:7], v[54:55], v[58:59]
	s_mov_b32 s13, 0x3fec55a7
	s_mov_b32 s25, 0x3fe22d96
	;; [unrolled: 1-line block ×18, first 2 shown]
	s_mov_b32 s1, exec_lo
	s_waitcnt lgkmcnt(3)
	s_delay_alu instid0(VALU_DEP_2) | instskip(NEXT) | instid1(VALU_DEP_2)
	v_add_f64 v[4:5], v[4:5], v[64:65]
	v_add_f64 v[6:7], v[6:7], v[66:67]
	s_waitcnt lgkmcnt(1)
	s_delay_alu instid0(VALU_DEP_2) | instskip(NEXT) | instid1(VALU_DEP_2)
	v_add_f64 v[8:9], v[4:5], v[68:69]
	v_add_f64 v[10:11], v[6:7], v[70:71]
	ds_load_b128 v[72:75], v85 offset:960
	ds_load_b128 v[4:7], v85 offset:1168
	;; [unrolled: 1-line block ×8, first 2 shown]
	s_waitcnt lgkmcnt(6)
	scratch_store_b128 off, v[4:7], off offset:12 ; 16-byte Folded Spill
	ds_load_b128 v[104:107], v85 offset:1920
	ds_load_b128 v[4:7], v85 offset:3088
	s_waitcnt lgkmcnt(4)
	v_add_f64 v[128:129], v[70:71], -v[102:103]
	s_waitcnt lgkmcnt(3)
	v_add_f64 v[116:117], v[58:59], -v[62:63]
	v_add_f64 v[122:123], v[56:57], -v[60:61]
	s_waitcnt lgkmcnt(2)
	v_add_f64 v[124:125], v[66:67], -v[82:83]
	v_add_f64 v[126:127], v[64:65], -v[80:81]
	;; [unrolled: 1-line block ×3, first 2 shown]
	v_add_f64 v[56:57], v[56:57], v[60:61]
	v_add_f64 v[58:59], v[58:59], v[62:63]
	;; [unrolled: 1-line block ×8, first 2 shown]
	s_waitcnt lgkmcnt(1)
	v_add_f64 v[88:89], v[76:77], v[104:105]
	s_waitcnt lgkmcnt(0)
	scratch_store_b128 off, v[4:7], off offset:28 ; 16-byte Folded Spill
	ds_load_b128 v[48:51], v85 offset:1648
	ds_load_b128 v[108:111], v85 offset:1680
	v_add_f64 v[90:91], v[78:79], v[106:107]
	v_add_f64 v[132:133], v[76:77], -v[104:105]
	v_add_f64 v[134:135], v[78:79], -v[106:107]
	ds_load_b128 v[112:115], v85 offset:2160
	v_mul_f64 v[160:161], v[128:129], s[18:19]
	v_mul_f64 v[140:141], v[116:117], s[2:3]
	;; [unrolled: 1-line block ×10, first 2 shown]
	s_waitcnt lgkmcnt(0)
	v_add_f64 v[138:139], v[74:75], v[114:115]
	v_add_f64 v[74:75], v[74:75], -v[114:115]
	v_add_f64 v[16:17], v[8:9], v[76:77]
	v_add_f64 v[18:19], v[10:11], v[78:79]
	;; [unrolled: 1-line block ×4, first 2 shown]
	v_mul_f64 v[156:157], v[124:125], s[20:21]
	v_mul_f64 v[158:159], v[126:127], s[20:21]
	;; [unrolled: 1-line block ×23, first 2 shown]
	v_fma_f64 v[196:197], v[56:57], s[12:13], -v[140:141]
	v_fma_f64 v[140:141], v[56:57], s[12:13], v[140:141]
	v_fma_f64 v[198:199], v[56:57], s[24:25], -v[142:143]
	v_fma_f64 v[142:143], v[56:57], s[24:25], v[142:143]
	v_fma_f64 v[200:201], v[56:57], s[22:23], -v[144:145]
	v_fma_f64 v[202:203], v[56:57], s[14:15], -v[116:117]
	v_fma_f64 v[206:207], v[58:59], s[22:23], v[150:151]
	v_fma_f64 v[150:151], v[58:59], s[22:23], -v[150:151]
	v_fma_f64 v[208:209], v[58:59], s[28:29], v[152:153]
	;; [unrolled: 2-line block ×3, first 2 shown]
	v_add_f64 v[118:119], v[16:17], v[96:97]
	v_add_f64 v[120:121], v[18:19], v[98:99]
	v_add_f64 v[96:97], v[96:97], -v[108:109]
	v_add_f64 v[98:99], v[98:99], -v[110:111]
	v_fma_f64 v[154:155], v[58:59], s[16:17], -v[154:155]
	v_add_f64 v[136:137], v[72:73], v[112:113]
	v_add_f64 v[72:73], v[72:73], -v[112:113]
	v_fma_f64 v[214:215], v[66:67], s[24:25], v[158:159]
	v_fma_f64 v[216:217], v[68:69], s[22:23], -v[160:161]
	v_fma_f64 v[218:219], v[64:65], s[28:29], -v[164:165]
	v_fma_f64 v[220:221], v[66:67], s[28:29], v[166:167]
	v_fma_f64 v[222:223], v[68:69], s[14:15], -v[168:169]
	v_fma_f64 v[224:225], v[70:71], s[14:15], v[170:171]
	v_fma_f64 v[164:165], v[64:65], s[28:29], v[164:165]
	v_fma_f64 v[166:167], v[66:67], s[28:29], -v[166:167]
	v_fma_f64 v[168:169], v[68:69], s[14:15], v[168:169]
	v_fma_f64 v[170:171], v[70:71], s[14:15], -v[170:171]
	v_fma_f64 v[226:227], v[64:65], s[14:15], -v[172:173]
	v_fma_f64 v[228:229], v[66:67], s[14:15], v[174:175]
	v_fma_f64 v[230:231], v[68:69], s[28:29], -v[176:177]
	v_fma_f64 v[232:233], v[70:71], s[28:29], v[178:179]
	v_fma_f64 v[172:173], v[64:65], s[14:15], v[172:173]
	v_fma_f64 v[174:175], v[66:67], s[14:15], -v[174:175]
	v_fma_f64 v[234:235], v[68:69], s[12:13], -v[184:185]
	v_fma_f64 v[236:237], v[70:71], s[12:13], v[186:187]
	v_fma_f64 v[184:185], v[68:69], s[12:13], v[184:185]
	v_fma_f64 v[186:187], v[70:71], s[12:13], -v[186:187]
	v_add_f64 v[196:197], v[52:53], v[196:197]
	v_add_f64 v[140:141], v[52:53], v[140:141]
	;; [unrolled: 1-line block ×13, first 2 shown]
	v_mul_f64 v[118:119], v[122:123], s[2:3]
	v_mul_f64 v[120:121], v[122:123], s[20:21]
	v_mul_f64 v[122:123], v[122:123], s[6:7]
	v_add_f64 v[154:155], v[54:55], v[154:155]
	v_fma_f64 v[238:239], v[70:71], s[16:17], v[130:131]
	v_fma_f64 v[130:131], v[70:71], s[16:17], -v[130:131]
	v_fma_f64 v[240:241], v[70:71], s[22:23], v[162:163]
	v_mul_f64 v[242:243], v[74:75], s[34:35]
	v_mul_f64 v[244:245], v[74:75], s[18:19]
	;; [unrolled: 1-line block ×4, first 2 shown]
	ds_load_b128 v[44:47], v85 offset:1888
	ds_load_b128 v[28:31], v85 offset:2608
	;; [unrolled: 1-line block ×5, first 2 shown]
	s_waitcnt lgkmcnt(0)
	s_waitcnt_vscnt null, 0x0
	s_barrier
	buffer_gl0_inv
	v_add_f64 v[142:143], v[164:165], v[142:143]
	v_add_f64 v[164:165], v[226:227], v[200:201]
	;; [unrolled: 1-line block ×3, first 2 shown]
	v_mul_f64 v[174:175], v[72:73], s[34:35]
	v_add_f64 v[104:105], v[108:109], v[104:105]
	v_add_f64 v[106:107], v[110:111], v[106:107]
	v_fma_f64 v[108:109], v[56:57], s[22:23], v[144:145]
	v_fma_f64 v[110:111], v[56:57], s[28:29], -v[146:147]
	v_fma_f64 v[144:145], v[56:57], s[28:29], v[146:147]
	v_fma_f64 v[146:147], v[56:57], s[16:17], -v[148:149]
	v_fma_f64 v[148:149], v[56:57], s[16:17], v[148:149]
	v_fma_f64 v[56:57], v[56:57], s[14:15], v[116:117]
	;; [unrolled: 1-line block ×3, first 2 shown]
	v_fma_f64 v[118:119], v[58:59], s[12:13], -v[118:119]
	v_fma_f64 v[204:205], v[58:59], s[24:25], v[120:121]
	v_fma_f64 v[120:121], v[58:59], s[24:25], -v[120:121]
	v_fma_f64 v[212:213], v[58:59], s[14:15], v[122:123]
	v_fma_f64 v[58:59], v[58:59], s[14:15], -v[122:123]
	v_fma_f64 v[122:123], v[64:65], s[24:25], -v[156:157]
	;; [unrolled: 1-line block ×3, first 2 shown]
	v_fma_f64 v[242:243], v[136:137], s[12:13], v[242:243]
	v_fma_f64 v[254:255], v[136:137], s[22:23], -v[244:245]
	v_fma_f64 v[244:245], v[136:137], s[22:23], v[244:245]
	v_fma_f64 v[8:9], v[136:137], s[14:15], -v[246:247]
	;; [unrolled: 2-line block ×3, first 2 shown]
	v_fma_f64 v[248:249], v[136:137], s[24:25], v[248:249]
	v_add_f64 v[142:143], v[168:169], v[142:143]
	v_add_f64 v[164:165], v[230:231], v[164:165]
	v_mul_f64 v[168:169], v[96:97], s[34:35]
	v_add_f64 v[104:105], v[104:105], v[112:113]
	v_add_f64 v[106:107], v[106:107], v[114:115]
	v_fma_f64 v[112:113], v[68:69], s[28:29], v[176:177]
	v_fma_f64 v[114:115], v[70:71], s[28:29], -v[178:179]
	v_fma_f64 v[176:177], v[64:65], s[16:17], -v[180:181]
	v_fma_f64 v[178:179], v[66:67], s[16:17], v[182:183]
	v_fma_f64 v[180:181], v[64:65], s[16:17], v[180:181]
	v_fma_f64 v[182:183], v[66:67], s[16:17], -v[182:183]
	v_add_f64 v[116:117], v[54:55], v[116:117]
	v_add_f64 v[118:119], v[54:55], v[118:119]
	;; [unrolled: 1-line block ×12, first 2 shown]
	v_fma_f64 v[56:57], v[64:65], s[22:23], -v[188:189]
	v_fma_f64 v[58:59], v[66:67], s[22:23], v[190:191]
	v_add_f64 v[164:165], v[252:253], v[164:165]
	v_mov_b32_e32 v253, v86
	v_add_f64 v[100:101], v[104:105], v[100:101]
	v_add_f64 v[102:103], v[106:107], v[102:103]
	v_fma_f64 v[104:105], v[68:69], s[24:25], -v[192:193]
	v_fma_f64 v[106:107], v[64:65], s[22:23], v[188:189]
	v_fma_f64 v[188:189], v[66:67], s[22:23], -v[190:191]
	v_fma_f64 v[190:191], v[68:69], s[24:25], v[192:193]
	;; [unrolled: 2-line block ×3, first 2 shown]
	v_fma_f64 v[64:65], v[64:65], s[24:25], v[156:157]
	v_fma_f64 v[156:157], v[66:67], s[12:13], v[126:127]
	v_fma_f64 v[126:127], v[66:67], s[12:13], -v[126:127]
	v_fma_f64 v[66:67], v[66:67], s[24:25], -v[158:159]
	;; [unrolled: 1-line block ×3, first 2 shown]
	v_fma_f64 v[128:129], v[68:69], s[16:17], v[128:129]
	v_fma_f64 v[68:69], v[68:69], s[22:23], v[160:161]
	;; [unrolled: 1-line block ×3, first 2 shown]
	v_fma_f64 v[194:195], v[70:71], s[24:25], -v[194:195]
	v_fma_f64 v[70:71], v[70:71], s[22:23], -v[162:163]
	v_mul_f64 v[162:163], v[74:75], s[30:31]
	v_mul_f64 v[74:75], v[74:75], s[26:27]
	v_add_f64 v[108:109], v[172:173], v[108:109]
	v_add_f64 v[110:111], v[176:177], v[110:111]
	v_mul_f64 v[172:173], v[72:73], s[30:31]
	v_mul_f64 v[176:177], v[72:73], s[18:19]
	v_add_f64 v[120:121], v[166:167], v[120:121]
	v_add_f64 v[166:167], v[228:229], v[206:207]
	;; [unrolled: 1-line block ×7, first 2 shown]
	v_mul_f64 v[182:183], v[132:133], s[20:21]
	v_add_f64 v[114:115], v[114:115], v[150:151]
	v_mul_f64 v[150:151], v[134:135], s[40:41]
	v_mul_f64 v[180:181], v[98:99], s[34:35]
	v_add_f64 v[80:81], v[100:101], v[80:81]
	v_add_f64 v[82:83], v[102:103], v[82:83]
	;; [unrolled: 1-line block ×4, first 2 shown]
	v_mul_f64 v[188:189], v[98:99], s[10:11]
	v_add_f64 v[148:149], v[192:193], v[202:203]
	v_add_f64 v[52:53], v[124:125], v[52:53]
	;; [unrolled: 1-line block ×6, first 2 shown]
	v_mul_f64 v[156:157], v[134:135], s[36:37]
	v_mul_f64 v[192:193], v[132:133], s[40:41]
	;; [unrolled: 1-line block ×6, first 2 shown]
	v_fma_f64 v[250:251], v[136:137], s[16:17], -v[162:163]
	v_fma_f64 v[4:5], v[136:137], s[28:29], -v[74:75]
	v_fma_f64 v[6:7], v[136:137], s[28:29], v[74:75]
	v_add_f64 v[74:75], v[122:123], v[196:197]
	v_add_f64 v[122:123], v[218:219], v[198:199]
	v_mul_f64 v[196:197], v[72:73], s[40:41]
	v_mul_f64 v[198:199], v[72:73], s[42:43]
	v_mul_f64 v[72:73], v[72:73], s[26:27]
	v_fma_f64 v[162:163], v[136:137], s[16:17], v[162:163]
	v_add_f64 v[136:137], v[220:221], v[204:205]
	v_fma_f64 v[200:201], v[138:139], s[16:17], v[172:173]
	v_fma_f64 v[172:173], v[138:139], s[16:17], -v[172:173]
	v_fma_f64 v[204:205], v[138:139], s[12:13], v[174:175]
	v_fma_f64 v[174:175], v[138:139], s[12:13], -v[174:175]
	;; [unrolled: 2-line block ×3, first 2 shown]
	v_add_f64 v[120:121], v[170:171], v[120:121]
	v_mul_f64 v[170:171], v[134:135], s[20:21]
	v_add_f64 v[166:167], v[232:233], v[166:167]
	v_add_f64 v[110:111], v[234:235], v[110:111]
	;; [unrolled: 1-line block ×4, first 2 shown]
	v_mul_f64 v[186:187], v[134:135], s[34:35]
	v_add_f64 v[56:57], v[104:105], v[56:57]
	v_mul_f64 v[104:105], v[132:133], s[34:35]
	v_add_f64 v[58:59], v[160:161], v[58:59]
	v_add_f64 v[106:107], v[190:191], v[106:107]
	v_mul_f64 v[134:135], v[134:135], s[26:27]
	v_add_f64 v[146:147], v[194:195], v[146:147]
	v_add_f64 v[148:149], v[158:159], v[148:149]
	;; [unrolled: 1-line block ×9, first 2 shown]
	v_fma_f64 v[130:131], v[88:89], s[22:23], -v[156:157]
	v_mul_f64 v[112:113], v[96:97], s[10:11]
	v_fma_f64 v[212:213], v[90:91], s[24:25], v[182:183]
	v_mul_f64 v[184:185], v[96:97], s[42:43]
	v_add_f64 v[74:75], v[216:217], v[74:75]
	v_add_f64 v[122:123], v[222:223], v[122:123]
	v_fma_f64 v[214:215], v[138:139], s[14:15], v[196:197]
	v_fma_f64 v[196:197], v[138:139], s[14:15], -v[196:197]
	v_fma_f64 v[218:219], v[138:139], s[24:25], v[198:199]
	v_fma_f64 v[198:199], v[138:139], s[24:25], -v[198:199]
	v_fma_f64 v[220:221], v[138:139], s[28:29], v[72:73]
	v_fma_f64 v[72:73], v[138:139], s[28:29], -v[72:73]
	v_add_f64 v[138:139], v[178:179], v[208:209]
	v_mul_f64 v[178:179], v[132:133], s[36:37]
	v_add_f64 v[136:137], v[224:225], v[136:137]
	v_mul_f64 v[132:133], v[132:133], s[26:27]
	v_add_f64 v[142:143], v[162:163], v[142:143]
	v_fma_f64 v[162:163], v[90:91], s[14:15], v[192:193]
	v_fma_f64 v[210:211], v[88:89], s[24:25], -v[170:171]
	v_add_f64 v[166:167], v[204:205], v[166:167]
	v_add_f64 v[110:111], v[254:255], v[110:111]
	v_mul_f64 v[160:161], v[98:99], s[26:27]
	v_mul_f64 v[190:191], v[96:97], s[26:27]
	v_fma_f64 v[158:159], v[90:91], s[16:17], v[126:127]
	v_fma_f64 v[156:157], v[88:89], s[22:23], v[156:157]
	v_add_f64 v[120:121], v[172:173], v[120:121]
	v_fma_f64 v[172:173], v[90:91], s[14:15], -v[192:193]
	v_fma_f64 v[192:193], v[88:89], s[12:13], -v[186:187]
	v_fma_f64 v[204:205], v[90:91], s[12:13], v[104:105]
	v_add_f64 v[56:57], v[8:9], v[56:57]
	v_mul_f64 v[140:141], v[96:97], s[6:7]
	v_fma_f64 v[194:195], v[88:89], s[16:17], -v[124:125]
	v_mul_f64 v[98:99], v[98:99], s[36:37]
	v_mul_f64 v[96:97], v[96:97], s[36:37]
	v_fma_f64 v[170:171], v[88:89], s[24:25], v[170:171]
	v_fma_f64 v[182:183], v[90:91], s[24:25], -v[182:183]
	v_add_f64 v[114:115], v[174:175], v[114:115]
	v_fma_f64 v[174:175], v[88:89], s[12:13], v[186:187]
	v_fma_f64 v[104:105], v[90:91], s[12:13], -v[104:105]
	v_fma_f64 v[186:187], v[88:89], s[28:29], -v[134:135]
	v_fma_f64 v[134:135], v[88:89], s[28:29], v[134:135]
	v_fma_f64 v[86:87], v[88:89], s[16:17], v[124:125]
	v_add_f64 v[4:5], v[4:5], v[74:75]
	v_add_f64 v[122:123], v[250:251], v[122:123]
	;; [unrolled: 1-line block ×9, first 2 shown]
	v_fma_f64 v[68:69], v[90:91], s[22:23], v[178:179]
	v_add_f64 v[136:137], v[200:201], v[136:137]
	v_fma_f64 v[200:201], v[88:89], s[14:15], -v[150:151]
	v_fma_f64 v[178:179], v[90:91], s[22:23], -v[178:179]
	v_fma_f64 v[150:151], v[88:89], s[14:15], v[150:151]
	v_fma_f64 v[88:89], v[90:91], s[16:17], -v[126:127]
	v_add_f64 v[152:153], v[176:177], v[152:153]
	v_add_f64 v[52:53], v[248:249], v[52:53]
	;; [unrolled: 1-line block ×5, first 2 shown]
	v_fma_f64 v[70:71], v[76:77], s[12:13], -v[180:181]
	v_fma_f64 v[74:75], v[78:79], s[12:13], v[168:169]
	v_add_f64 v[126:127], v[212:213], v[166:167]
	v_fma_f64 v[148:149], v[78:79], s[24:25], v[184:185]
	v_add_f64 v[100:101], v[156:157], v[142:143]
	v_add_f64 v[156:157], v[192:193], v[56:57]
	v_fma_f64 v[208:209], v[76:77], s[14:15], -v[118:119]
	v_fma_f64 v[128:129], v[78:79], s[14:15], v[140:141]
	v_fma_f64 v[154:155], v[78:79], s[24:25], -v[184:185]
	v_fma_f64 v[142:143], v[76:77], s[16:17], v[188:189]
	v_fma_f64 v[118:119], v[76:77], s[14:15], v[118:119]
	v_fma_f64 v[140:141], v[78:79], s[14:15], -v[140:141]
	v_add_f64 v[114:115], v[182:183], v[114:115]
	v_add_f64 v[4:5], v[194:195], v[4:5]
	;; [unrolled: 1-line block ×4, first 2 shown]
	v_fma_f64 v[130:131], v[76:77], s[16:17], -v[188:189]
	v_fma_f64 v[164:165], v[78:79], s[28:29], v[190:191]
	v_add_f64 v[93:94], v[186:187], v[93:94]
	v_add_f64 v[66:67], v[158:159], v[116:117]
	;; [unrolled: 1-line block ×4, first 2 shown]
	v_fma_f64 v[206:207], v[90:91], s[28:29], v[132:133]
	v_fma_f64 v[132:133], v[90:91], s[28:29], -v[132:133]
	v_add_f64 v[90:91], v[246:247], v[106:107]
	v_add_f64 v[106:107], v[196:197], v[146:147]
	;; [unrolled: 1-line block ×3, first 2 shown]
	v_fma_f64 v[136:137], v[78:79], s[16:17], v[112:113]
	v_add_f64 v[110:111], v[200:201], v[110:111]
	v_fma_f64 v[146:147], v[76:77], s[24:25], -v[202:203]
	v_add_f64 v[102:103], v[178:179], v[120:121]
	v_fma_f64 v[120:121], v[78:79], s[12:13], -v[168:169]
	v_fma_f64 v[168:169], v[78:79], s[22:23], v[96:97]
	v_fma_f64 v[116:117], v[76:77], s[12:13], v[180:181]
	v_add_f64 v[108:109], v[170:171], v[108:109]
	v_add_f64 v[144:145], v[150:151], v[144:145]
	;; [unrolled: 1-line block ×4, first 2 shown]
	v_fma_f64 v[170:171], v[76:77], s[22:23], v[98:99]
	v_fma_f64 v[172:173], v[78:79], s[22:23], -v[96:97]
	v_fma_f64 v[152:153], v[76:77], s[24:25], v[202:203]
	v_fma_f64 v[112:113], v[78:79], s[16:17], -v[112:113]
	v_add_f64 v[6:7], v[86:87], v[6:7]
	v_add_f64 v[86:87], v[88:89], v[64:65]
	;; [unrolled: 1-line block ×5, first 2 shown]
	v_mad_u32_u24 v4, 0xd0, v84, v95
	v_add_f64 v[58:59], v[128:129], v[66:67]
	v_add_f64 v[138:139], v[162:163], v[138:139]
	v_fma_f64 v[162:163], v[76:77], s[28:29], -v[160:161]
	v_add_f64 v[132:133], v[132:133], v[54:55]
	v_add_f64 v[166:167], v[174:175], v[90:91]
	v_add_f64 v[106:107], v[104:105], v[106:107]
	v_add_f64 v[104:105], v[206:207], v[124:125]
	v_fma_f64 v[124:125], v[76:77], s[22:23], -v[98:99]
	v_fma_f64 v[160:161], v[76:77], s[28:29], v[160:161]
	v_fma_f64 v[174:175], v[78:79], s[28:29], -v[190:191]
	v_add_f64 v[54:55], v[82:83], v[62:63]
	v_add_f64 v[62:63], v[74:75], v[68:69]
	;; [unrolled: 1-line block ×22, first 2 shown]
	ds_store_b128 v4, v[60:63] offset:32
	ds_store_b128 v4, v[68:71] offset:48
	;; [unrolled: 1-line block ×4, first 2 shown]
	ds_store_b128 v4, v[52:55]
	ds_store_b128 v4, v[56:59] offset:16
	ds_store_b128 v4, v[96:99] offset:96
	;; [unrolled: 1-line block ×8, first 2 shown]
	v_cmpx_gt_u32_e32 2, v84
	s_cbranch_execz .LBB0_15
; %bb.14:
	s_clause 0x1
	scratch_load_b128 v[8:11], off, off offset:12
	scratch_load_b128 v[243:246], off, off offset:28
	v_add_f64 v[4:5], v[2:3], v[22:23]
	v_add_f64 v[6:7], v[0:1], v[20:21]
	;; [unrolled: 1-line block ×4, first 2 shown]
	v_add_f64 v[78:79], v[14:15], -v[30:31]
	v_add_f64 v[82:83], v[12:13], -v[28:29]
	v_add_f64 v[86:87], v[24:25], -v[16:17]
	v_add_f64 v[93:94], v[12:13], v[28:29]
	v_add_f64 v[58:59], v[50:51], v[46:47]
	;; [unrolled: 1-line block ×3, first 2 shown]
	v_add_f64 v[54:55], v[36:37], -v[40:41]
	v_add_f64 v[52:53], v[48:49], v[44:45]
	v_add_f64 v[62:63], v[50:51], -v[46:47]
	v_add_f64 v[56:57], v[36:37], v[40:41]
	;; [unrolled: 2-line block ×3, first 2 shown]
	v_add_f64 v[6:7], v[6:7], v[24:25]
	v_add_f64 v[26:27], v[26:27], -v[18:19]
	v_add_f64 v[24:25], v[24:25], v[16:17]
	v_mul_f64 v[97:98], v[68:69], s[16:17]
	v_mul_f64 v[99:100], v[70:71], s[12:13]
	;; [unrolled: 1-line block ×26, first 2 shown]
	v_add_f64 v[4:5], v[4:5], v[14:15]
	v_add_f64 v[6:7], v[6:7], v[12:13]
	v_mul_f64 v[151:152], v[26:27], s[34:35]
	v_mul_f64 v[153:154], v[26:27], s[36:37]
	;; [unrolled: 1-line block ×6, first 2 shown]
	v_fma_f64 v[189:190], v[82:83], s[30:31], v[97:98]
	v_fma_f64 v[191:192], v[86:87], s[2:3], v[99:100]
	;; [unrolled: 1-line block ×16, first 2 shown]
	v_fma_f64 v[163:164], v[93:94], s[24:25], -v[163:164]
	v_fma_f64 v[237:238], v[24:25], s[12:13], v[151:152]
	v_fma_f64 v[247:248], v[24:25], s[16:17], v[155:156]
	v_fma_f64 v[155:156], v[24:25], s[16:17], -v[155:156]
	v_fma_f64 v[249:250], v[24:25], s[14:15], v[157:158]
	v_fma_f64 v[157:158], v[24:25], s[14:15], -v[157:158]
	s_waitcnt vmcnt(1)
	v_add_f64 v[66:67], v[10:11], v[34:35]
	s_waitcnt vmcnt(0)
	v_add_f64 v[72:73], v[22:23], v[245:246]
	v_add_f64 v[76:77], v[22:23], -v[245:246]
	v_add_f64 v[74:75], v[10:11], -v[34:35]
	v_add_f64 v[88:89], v[20:21], -v[243:244]
	v_add_f64 v[20:21], v[20:21], v[243:244]
	v_add_f64 v[4:5], v[4:5], v[10:11]
	;; [unrolled: 1-line block ×3, first 2 shown]
	v_add_f64 v[80:81], v[8:9], -v[32:33]
	v_add_f64 v[90:91], v[8:9], v[32:33]
	v_add_f64 v[22:23], v[48:49], -v[44:45]
	v_mul_f64 v[95:96], v[66:67], s[24:25]
	v_mul_f64 v[101:102], v[72:73], s[14:15]
	;; [unrolled: 1-line block ×24, first 2 shown]
	v_add_f64 v[4:5], v[4:5], v[38:39]
	v_add_f64 v[6:7], v[6:7], v[36:37]
	v_fma_f64 v[38:39], v[86:87], s[30:31], v[123:124]
	v_fma_f64 v[123:124], v[86:87], s[40:41], v[135:136]
	;; [unrolled: 1-line block ×6, first 2 shown]
	v_fma_f64 v[105:106], v[20:21], s[14:15], -v[105:106]
	v_fma_f64 v[209:210], v[20:21], s[16:17], v[117:118]
	v_fma_f64 v[117:118], v[20:21], s[16:17], -v[117:118]
	v_fma_f64 v[217:218], v[88:89], s[38:39], v[125:126]
	v_fma_f64 v[221:222], v[20:21], s[28:29], v[129:130]
	;; [unrolled: 1-line block ×3, first 2 shown]
	v_fma_f64 v[129:130], v[20:21], s[28:29], -v[129:130]
	v_fma_f64 v[223:224], v[88:89], s[36:37], v[137:138]
	v_fma_f64 v[225:226], v[20:21], s[22:23], v[141:142]
	v_fma_f64 v[141:142], v[20:21], s[22:23], -v[141:142]
	v_fma_f64 v[229:230], v[20:21], s[24:25], v[14:15]
	v_fma_f64 v[14:15], v[20:21], s[24:25], -v[14:15]
	v_fma_f64 v[231:232], v[88:89], s[34:35], v[72:73]
	v_fma_f64 v[233:234], v[20:21], s[12:13], v[76:77]
	v_fma_f64 v[20:21], v[20:21], s[12:13], -v[76:77]
	v_fma_f64 v[195:196], v[90:91], s[24:25], v[103:104]
	v_fma_f64 v[95:96], v[80:81], s[42:43], v[95:96]
	;; [unrolled: 1-line block ×3, first 2 shown]
	v_fma_f64 v[103:104], v[90:91], s[24:25], -v[103:104]
	v_fma_f64 v[199:200], v[80:81], s[6:7], v[107:108]
	v_fma_f64 v[205:206], v[88:89], s[30:31], v[113:114]
	;; [unrolled: 1-line block ×5, first 2 shown]
	v_fma_f64 v[115:116], v[90:91], s[14:15], -v[115:116]
	v_fma_f64 v[211:212], v[80:81], s[36:37], v[119:120]
	v_fma_f64 v[219:220], v[90:91], s[22:23], v[127:128]
	;; [unrolled: 1-line block ×7, first 2 shown]
	v_fma_f64 v[72:73], v[90:91], s[22:23], -v[127:128]
	v_fma_f64 v[76:77], v[80:81], s[2:3], v[131:132]
	v_fma_f64 v[88:89], v[82:83], s[26:27], v[133:134]
	;; [unrolled: 1-line block ×5, first 2 shown]
	v_fma_f64 v[139:140], v[90:91], s[12:13], -v[139:140]
	v_fma_f64 v[235:236], v[80:81], s[10:11], v[143:144]
	v_fma_f64 v[8:9], v[90:91], s[16:17], v[12:13]
	;; [unrolled: 1-line block ×3, first 2 shown]
	v_fma_f64 v[12:13], v[90:91], s[16:17], -v[12:13]
	v_fma_f64 v[10:11], v[80:81], s[38:39], v[66:67]
	v_fma_f64 v[66:67], v[80:81], s[26:27], v[66:67]
	;; [unrolled: 1-line block ×7, first 2 shown]
	v_fma_f64 v[74:75], v[90:91], s[28:29], -v[74:75]
	v_fma_f64 v[90:91], v[24:25], s[12:13], -v[151:152]
	v_fma_f64 v[151:152], v[24:25], s[22:23], v[153:154]
	v_fma_f64 v[153:154], v[24:25], s[22:23], -v[153:154]
	v_add_f64 v[4:5], v[4:5], v[50:51]
	v_add_f64 v[6:7], v[6:7], v[48:49]
	v_fma_f64 v[48:49], v[24:25], s[28:29], v[159:160]
	v_fma_f64 v[50:51], v[24:25], s[28:29], -v[159:160]
	v_fma_f64 v[159:160], v[24:25], s[24:25], v[26:27]
	v_fma_f64 v[24:25], v[24:25], s[24:25], -v[26:27]
	v_add_f64 v[197:198], v[0:1], v[197:198]
	v_add_f64 v[105:106], v[0:1], v[105:106]
	;; [unrolled: 1-line block ×15, first 2 shown]
	v_fma_f64 v[26:27], v[93:94], s[16:17], v[161:162]
	v_add_f64 v[193:194], v[2:3], v[193:194]
	v_add_f64 v[101:102], v[2:3], v[101:102]
	v_add_f64 v[205:206], v[2:3], v[205:206]
	v_add_f64 v[113:114], v[2:3], v[113:114]
	v_add_f64 v[217:218], v[2:3], v[217:218]
	v_add_f64 v[137:138], v[2:3], v[137:138]
	v_add_f64 v[227:228], v[2:3], v[227:228]
	v_add_f64 v[149:150], v[2:3], v[149:150]
	v_add_f64 v[2:3], v[2:3], v[36:37]
	v_fma_f64 v[20:21], v[93:94], s[12:13], v[165:166]
	v_fma_f64 v[36:37], v[93:94], s[12:13], -v[165:166]
	v_fma_f64 v[165:166], v[93:94], s[28:29], v[167:168]
	v_fma_f64 v[167:168], v[93:94], s[28:29], -v[167:168]
	v_fma_f64 v[161:162], v[93:94], s[16:17], -v[161:162]
	v_add_f64 v[4:5], v[4:5], v[46:47]
	v_add_f64 v[6:7], v[6:7], v[44:45]
	v_fma_f64 v[44:45], v[93:94], s[14:15], v[169:170]
	v_fma_f64 v[46:47], v[93:94], s[14:15], -v[169:170]
	v_fma_f64 v[169:170], v[93:94], s[22:23], v[78:79]
	v_fma_f64 v[78:79], v[93:94], s[22:23], -v[78:79]
	v_add_f64 v[197:198], v[237:238], v[197:198]
	v_add_f64 v[90:91], v[90:91], v[105:106]
	v_mul_f64 v[93:94], v[58:59], s[24:25]
	v_add_f64 v[117:118], v[153:154], v[117:118]
	v_mul_f64 v[237:238], v[62:63], s[42:43]
	;; [unrolled: 2-line block ×3, first 2 shown]
	v_add_f64 v[123:124], v[123:124], v[223:224]
	v_add_f64 v[129:130], v[155:156], v[129:130]
	;; [unrolled: 1-line block ×10, first 2 shown]
	v_mul_f64 v[193:194], v[60:61], s[14:15]
	v_add_f64 v[99:100], v[99:100], v[101:102]
	v_mul_f64 v[101:102], v[64:65], s[40:41]
	v_add_f64 v[203:204], v[203:204], v[205:206]
	;; [unrolled: 2-line block ×4, first 2 shown]
	v_mul_f64 v[217:218], v[60:61], s[22:23]
	v_mul_f64 v[60:61], v[60:61], s[16:17]
	;; [unrolled: 1-line block ×3, first 2 shown]
	v_add_f64 v[135:136], v[135:136], v[137:138]
	v_add_f64 v[2:3], v[70:71], v[2:3]
	v_mul_f64 v[105:106], v[58:59], s[16:17]
	v_add_f64 v[151:152], v[151:152], v[209:210]
	v_add_f64 v[4:5], v[4:5], v[42:43]
	;; [unrolled: 1-line block ×3, first 2 shown]
	v_mul_f64 v[209:210], v[62:63], s[10:11]
	v_mul_f64 v[153:154], v[58:59], s[12:13]
	v_add_f64 v[221:222], v[247:248], v[221:222]
	v_mul_f64 v[247:248], v[62:63], s[34:35]
	v_add_f64 v[26:27], v[26:27], v[197:198]
	v_mul_f64 v[58:59], v[58:59], s[14:15]
	v_mul_f64 v[62:63], v[62:63], s[6:7]
	v_fma_f64 v[223:224], v[54:55], s[38:39], v[173:174]
	v_fma_f64 v[157:158], v[56:57], s[28:29], v[177:178]
	v_add_f64 v[38:39], v[121:122], v[38:39]
	v_fma_f64 v[173:174], v[54:55], s[26:27], v[173:174]
	v_add_f64 v[88:89], v[88:89], v[123:124]
	v_fma_f64 v[177:178], v[56:57], s[28:29], -v[177:178]
	v_fma_f64 v[50:51], v[54:55], s[2:3], v[181:182]
	v_add_f64 v[44:45], v[44:45], v[48:49]
	v_add_f64 v[14:15], v[46:47], v[14:15]
	;; [unrolled: 1-line block ×6, first 2 shown]
	v_fma_f64 v[241:242], v[56:57], s[12:13], v[185:186]
	v_fma_f64 v[42:43], v[54:55], s[34:35], v[181:182]
	v_fma_f64 v[159:160], v[56:57], s[12:13], -v[185:186]
	v_fma_f64 v[181:182], v[54:55], s[6:7], v[193:194]
	v_fma_f64 v[185:186], v[56:57], s[14:15], v[101:102]
	;; [unrolled: 1-line block ×3, first 2 shown]
	v_fma_f64 v[101:102], v[56:57], s[14:15], -v[101:102]
	v_add_f64 v[90:91], v[161:162], v[90:91]
	v_add_f64 v[109:110], v[109:110], v[111:112]
	;; [unrolled: 1-line block ×8, first 2 shown]
	v_fma_f64 v[68:69], v[54:55], s[20:21], v[205:206]
	v_add_f64 v[4:5], v[4:5], v[34:35]
	v_add_f64 v[6:7], v[6:7], v[32:33]
	v_fma_f64 v[32:33], v[54:55], s[42:43], v[205:206]
	v_fma_f64 v[34:35], v[56:57], s[24:25], v[113:114]
	v_fma_f64 v[78:79], v[56:57], s[24:25], -v[113:114]
	v_fma_f64 v[80:81], v[54:55], s[18:19], v[217:218]
	v_fma_f64 v[82:83], v[56:57], s[22:23], v[125:126]
	;; [unrolled: 1-line block ×3, first 2 shown]
	v_fma_f64 v[125:126], v[56:57], s[22:23], -v[125:126]
	v_fma_f64 v[135:136], v[54:55], s[30:31], v[60:61]
	v_fma_f64 v[54:55], v[54:55], s[10:11], v[60:61]
	;; [unrolled: 1-line block ×3, first 2 shown]
	v_fma_f64 v[56:57], v[56:57], s[16:17], -v[64:65]
	v_add_f64 v[26:27], v[195:196], v[26:27]
	v_add_f64 v[38:39], v[119:120], v[38:39]
	v_fma_f64 v[137:138], v[52:53], s[22:23], v[175:176]
	v_fma_f64 v[175:176], v[52:53], s[22:23], -v[175:176]
	v_add_f64 v[12:13], v[12:13], v[14:15]
	v_add_f64 v[14:15], v[139:140], v[46:47]
	;; [unrolled: 1-line block ×6, first 2 shown]
	v_fma_f64 v[149:150], v[22:23], s[38:39], v[179:180]
	v_fma_f64 v[249:250], v[52:53], s[28:29], v[183:184]
	;; [unrolled: 1-line block ×3, first 2 shown]
	v_fma_f64 v[70:71], v[52:53], s[28:29], -v[183:184]
	v_fma_f64 v[179:180], v[22:23], s[20:21], v[93:94]
	v_fma_f64 v[183:184], v[52:53], s[24:25], v[237:238]
	;; [unrolled: 1-line block ×3, first 2 shown]
	v_fma_f64 v[229:230], v[52:53], s[24:25], -v[237:238]
	v_add_f64 v[90:91], v[103:104], v[90:91]
	v_add_f64 v[103:104], v[107:108], v[109:110]
	;; [unrolled: 1-line block ×9, first 2 shown]
	v_fma_f64 v[66:67], v[22:23], s[30:31], v[105:106]
	v_fma_f64 v[74:75], v[52:53], s[16:17], v[209:210]
	;; [unrolled: 1-line block ×3, first 2 shown]
	v_fma_f64 v[86:87], v[52:53], s[16:17], -v[209:210]
	v_fma_f64 v[105:106], v[52:53], s[12:13], v[247:248]
	v_fma_f64 v[119:120], v[52:53], s[12:13], -v[247:248]
	v_fma_f64 v[121:122], v[22:23], s[40:41], v[58:59]
	v_fma_f64 v[123:124], v[52:53], s[14:15], v[62:63]
	v_fma_f64 v[52:53], v[52:53], s[14:15], -v[62:63]
	v_add_f64 v[189:190], v[189:190], v[191:192]
	v_add_f64 v[97:98], v[97:98], v[99:100]
	;; [unrolled: 1-line block ×15, first 2 shown]
	v_fma_f64 v[155:156], v[22:23], s[18:19], v[171:172]
	v_fma_f64 v[171:172], v[22:23], s[36:37], v[171:172]
	;; [unrolled: 1-line block ×4, first 2 shown]
	v_add_f64 v[78:79], v[78:79], v[14:15]
	v_add_f64 v[62:63], v[177:178], v[90:91]
	;; [unrolled: 1-line block ×20, first 2 shown]
	scratch_load_b32 v52, off, off          ; 4-byte Folded Reload
	v_add_f64 v[115:116], v[143:144], v[133:134]
	v_add_f64 v[76:77], v[235:236], v[129:130]
	v_fma_f64 v[117:118], v[22:23], s[34:35], v[153:154]
	v_add_f64 v[44:45], v[82:83], v[44:45]
	v_add_f64 v[82:83], v[6:7], v[16:17]
	;; [unrolled: 1-line block ×33, first 2 shown]
	s_waitcnt vmcnt(0)
	v_mul_i32_i24_e32 v52, 0xd0, v52
	s_delay_alu instid0(VALU_DEP_1)
	v_add3_u32 v52, 0, v52, v253
	ds_store_b128 v52, v[32:35] offset:32
	ds_store_b128 v52, v[28:31] offset:48
	;; [unrolled: 1-line block ×11, first 2 shown]
	ds_store_b128 v52, v[8:11]
	ds_store_b128 v52, v[44:47] offset:192
.LBB0_15:
	s_or_b32 exec_lo, exec_lo, s1
	v_dual_mov_b32 v1, 0 :: v_dual_lshlrev_b32 v0, 2, v84
	v_add_nc_u32_e32 v15, 26, v84
	s_waitcnt lgkmcnt(0)
	s_barrier
	buffer_gl0_inv
	s_mov_b32 s10, 0x134454ff
	v_and_b32_e32 v2, 0xff, v15
	s_mov_b32 s11, 0x3fee6f0e
	s_mov_b32 s13, 0xbfee6f0e
	s_mov_b32 s12, s10
	s_mov_b32 s2, 0x4755a5e
	v_mul_lo_u16 v4, 0x4f, v2
	v_lshlrev_b64 v[2:3], 4, v[0:1]
	s_mov_b32 s3, 0x3fe2cf23
	s_mov_b32 s7, 0xbfe2cf23
	;; [unrolled: 1-line block ×3, first 2 shown]
	v_lshrrev_b16 v0, 10, v4
	s_delay_alu instid0(VALU_DEP_2) | instskip(NEXT) | instid1(VALU_DEP_1)
	v_add_co_u32 v2, s0, s4, v2
	v_add_co_ci_u32_e64 v3, s0, s5, v3, s0
	s_delay_alu instid0(VALU_DEP_3)
	v_mul_lo_u16 v0, v0, 13
	s_mov_b32 s0, 0x372fe950
	s_mov_b32 s1, 0x3fd3c6ef
	s_clause 0x3
	global_load_b128 v[6:9], v[2:3], off
	global_load_b128 v[10:13], v[2:3], off offset:16
	global_load_b128 v[17:20], v[2:3], off offset:32
	;; [unrolled: 1-line block ×3, first 2 shown]
	v_sub_nc_u16 v0, v15, v0
	s_delay_alu instid0(VALU_DEP_1) | instskip(NEXT) | instid1(VALU_DEP_1)
	v_and_b32_e32 v16, 0xff, v0
	v_lshlrev_b32_e32 v0, 6, v16
	s_clause 0x3
	global_load_b128 v[25:28], v0, s[4:5]
	global_load_b128 v[29:32], v0, s[4:5] offset:16
	global_load_b128 v[33:36], v0, s[4:5] offset:32
	;; [unrolled: 1-line block ×3, first 2 shown]
	ds_load_b128 v[2:5], v85 offset:624
	ds_load_b128 v[41:44], v85 offset:1248
	;; [unrolled: 1-line block ×12, first 2 shown]
	scratch_load_b32 v83, off, off          ; 4-byte Folded Reload
	s_waitcnt vmcnt(7) lgkmcnt(10)
	v_mul_f64 v[93:94], v[43:44], v[12:13]
	s_waitcnt vmcnt(6) lgkmcnt(9)
	v_mul_f64 v[95:96], v[47:48], v[19:20]
	v_mul_f64 v[97:98], v[41:42], v[12:13]
	;; [unrolled: 1-line block ×5, first 2 shown]
	s_waitcnt vmcnt(5) lgkmcnt(8)
	v_mul_f64 v[99:100], v[51:52], v[23:24]
	v_mul_f64 v[101:102], v[49:50], v[23:24]
	s_waitcnt lgkmcnt(7)
	v_mul_f64 v[105:106], v[55:56], v[8:9]
	v_mul_f64 v[8:9], v[53:54], v[8:9]
	s_waitcnt lgkmcnt(6)
	v_mul_f64 v[107:108], v[59:60], v[12:13]
	s_waitcnt lgkmcnt(5)
	v_mul_f64 v[109:110], v[63:64], v[19:20]
	v_mul_f64 v[12:13], v[57:58], v[12:13]
	;; [unrolled: 1-line block ×3, first 2 shown]
	s_waitcnt lgkmcnt(4)
	v_mul_f64 v[111:112], v[67:68], v[23:24]
	v_mul_f64 v[23:24], v[65:66], v[23:24]
	s_waitcnt vmcnt(3) lgkmcnt(2)
	v_mul_f64 v[115:116], v[75:76], v[31:32]
	s_waitcnt vmcnt(2) lgkmcnt(1)
	v_mul_f64 v[117:118], v[79:80], v[35:36]
	v_mul_f64 v[31:32], v[73:74], v[31:32]
	;; [unrolled: 1-line block ×5, first 2 shown]
	s_waitcnt vmcnt(1) lgkmcnt(0)
	v_mul_f64 v[119:120], v[90:91], v[39:40]
	v_mul_f64 v[39:40], v[88:89], v[39:40]
	s_waitcnt vmcnt(0)
	v_lshlrev_b32_e32 v0, 4, v83
	s_delay_alu instid0(VALU_DEP_1)
	v_add3_u32 v14, 0, v0, v253
	v_lshlrev_b32_e32 v0, 1, v84
	v_fma_f64 v[41:42], v[41:42], v[10:11], -v[93:94]
	v_fma_f64 v[45:46], v[45:46], v[17:18], -v[95:96]
	v_fma_f64 v[43:44], v[43:44], v[10:11], v[97:98]
	v_fma_f64 v[47:48], v[47:48], v[17:18], v[103:104]
	v_fma_f64 v[81:82], v[2:3], v[6:7], -v[81:82]
	v_fma_f64 v[86:87], v[4:5], v[6:7], v[86:87]
	v_fma_f64 v[2:3], v[49:50], v[21:22], -v[99:100]
	;; [unrolled: 2-line block ×4, first 2 shown]
	v_fma_f64 v[55:56], v[61:62], v[17:18], -v[109:110]
	v_fma_f64 v[57:58], v[59:60], v[10:11], v[12:13]
	v_fma_f64 v[59:60], v[63:64], v[17:18], v[19:20]
	v_fma_f64 v[6:7], v[65:66], v[21:22], -v[111:112]
	v_fma_f64 v[8:9], v[67:68], v[21:22], v[23:24]
	v_fma_f64 v[65:66], v[73:74], v[29:30], -v[115:116]
	v_fma_f64 v[67:68], v[77:78], v[33:34], -v[117:118]
	v_fma_f64 v[29:30], v[75:76], v[29:30], v[31:32]
	v_fma_f64 v[31:32], v[79:80], v[33:34], v[35:36]
	v_fma_f64 v[61:62], v[69:70], v[25:26], -v[113:114]
	v_fma_f64 v[63:64], v[71:72], v[25:26], v[27:28]
	v_fma_f64 v[10:11], v[88:89], v[37:38], -v[119:120]
	v_fma_f64 v[12:13], v[90:91], v[37:38], v[39:40]
	ds_load_b128 v[17:20], v92
	ds_load_b128 v[21:24], v85 offset:416
	ds_load_b128 v[25:28], v14
	s_waitcnt lgkmcnt(0)
	s_barrier
	buffer_gl0_inv
	v_add_f64 v[33:34], v[41:42], v[45:46]
	v_add_f64 v[105:106], v[41:42], -v[45:46]
	v_add_f64 v[69:70], v[43:44], v[47:48]
	v_add_f64 v[75:76], v[81:82], -v[41:42]
	v_add_f64 v[90:91], v[41:42], -v[81:82]
	v_add_f64 v[37:38], v[81:82], v[2:3]
	v_add_f64 v[73:74], v[86:87], v[4:5]
	;; [unrolled: 1-line block ×4, first 2 shown]
	v_add_f64 v[39:40], v[86:87], -v[4:5]
	v_add_f64 v[77:78], v[53:54], v[55:56]
	v_add_f64 v[79:80], v[2:3], -v[45:46]
	v_add_f64 v[93:94], v[57:58], v[59:60]
	v_add_f64 v[88:89], v[49:50], v[6:7]
	;; [unrolled: 1-line block ×3, first 2 shown]
	v_add_f64 v[95:96], v[45:46], -v[2:3]
	v_add_f64 v[101:102], v[65:66], v[67:68]
	v_add_f64 v[81:82], v[81:82], -v[2:3]
	v_add_f64 v[107:108], v[29:30], v[31:32]
	v_add_f64 v[117:118], v[25:26], v[49:50]
	;; [unrolled: 1-line block ×5, first 2 shown]
	v_add_f64 v[71:72], v[43:44], -v[47:48]
	v_add_f64 v[111:112], v[86:87], -v[43:44]
	;; [unrolled: 1-line block ×3, first 2 shown]
	v_add_f64 v[131:132], v[27:28], v[51:52]
	v_add_f64 v[135:136], v[21:22], v[61:62]
	v_add_f64 v[119:120], v[51:52], -v[8:9]
	v_add_f64 v[123:124], v[49:50], -v[53:54]
	;; [unrolled: 1-line block ×10, first 2 shown]
	v_fma_f64 v[33:34], v[33:34], -0.5, v[17:18]
	v_add_f64 v[125:126], v[6:7], -v[55:56]
	v_fma_f64 v[69:70], v[69:70], -0.5, v[19:20]
	v_add_f64 v[129:130], v[55:56], -v[6:7]
	v_add_f64 v[139:140], v[51:52], -v[57:58]
	v_fma_f64 v[17:18], v[37:38], -0.5, v[17:18]
	v_fma_f64 v[19:20], v[73:74], -0.5, v[19:20]
	v_add_f64 v[37:38], v[8:9], -v[59:60]
	v_add_f64 v[35:36], v[35:36], v[41:42]
	v_add_f64 v[43:44], v[99:100], v[43:44]
	v_fma_f64 v[77:78], v[77:78], -0.5, v[25:26]
	v_add_f64 v[147:148], v[63:64], -v[29:30]
	v_fma_f64 v[93:94], v[93:94], -0.5, v[27:28]
	v_fma_f64 v[25:26], v[88:89], -0.5, v[25:26]
	;; [unrolled: 1-line block ×3, first 2 shown]
	v_add_f64 v[88:89], v[29:30], -v[31:32]
	v_fma_f64 v[101:102], v[101:102], -0.5, v[21:22]
	v_add_f64 v[63:64], v[29:30], -v[63:64]
	v_fma_f64 v[107:108], v[107:108], -0.5, v[23:24]
	v_add_f64 v[41:42], v[75:76], v[79:80]
	v_add_f64 v[75:76], v[90:91], v[95:96]
	v_fma_f64 v[21:22], v[103:104], -0.5, v[21:22]
	v_add_f64 v[103:104], v[65:66], -v[67:68]
	v_fma_f64 v[23:24], v[109:110], -0.5, v[23:24]
	v_add_f64 v[53:54], v[117:118], v[53:54]
	v_add_f64 v[29:30], v[137:138], v[29:30]
	v_add_f64 v[51:52], v[57:58], -v[51:52]
	v_add_f64 v[79:80], v[111:112], v[113:114]
	v_add_f64 v[57:58], v[131:132], v[57:58]
	v_add_f64 v[143:144], v[61:62], -v[65:66]
	v_add_f64 v[61:62], v[65:66], -v[61:62]
	v_add_f64 v[65:66], v[135:136], v[65:66]
	v_add_f64 v[73:74], v[59:60], -v[8:9]
	v_add_f64 v[86:87], v[86:87], v[115:116]
	v_add_f64 v[97:98], v[10:11], -v[67:68]
	v_add_f64 v[149:150], v[12:13], -v[31:32]
	;; [unrolled: 1-line block ×4, first 2 shown]
	v_fma_f64 v[90:91], v[39:40], s[10:11], v[33:34]
	v_fma_f64 v[33:34], v[39:40], s[12:13], v[33:34]
	;; [unrolled: 1-line block ×4, first 2 shown]
	v_add_f64 v[123:124], v[123:124], v[125:126]
	v_fma_f64 v[95:96], v[71:72], s[12:13], v[17:18]
	v_fma_f64 v[111:112], v[105:106], s[10:11], v[19:20]
	;; [unrolled: 1-line block ×4, first 2 shown]
	v_add_f64 v[125:126], v[127:128], v[129:130]
	v_fma_f64 v[113:114], v[119:120], s[10:11], v[77:78]
	v_fma_f64 v[77:78], v[119:120], s[12:13], v[77:78]
	;; [unrolled: 1-line block ×16, first 2 shown]
	v_add_f64 v[127:128], v[139:140], v[37:38]
	v_add_f64 v[35:36], v[35:36], v[45:46]
	;; [unrolled: 1-line block ×12, first 2 shown]
	v_fma_f64 v[31:32], v[71:72], s[2:3], v[90:91]
	v_fma_f64 v[33:34], v[71:72], s[6:7], v[33:34]
	;; [unrolled: 1-line block ×24, first 2 shown]
	v_dual_mov_b32 v114, v1 :: v_dual_lshlrev_b32 v107, 1, v83
	v_add_f64 v[2:3], v[35:36], v[2:3]
	v_add_f64 v[4:5], v[37:38], v[4:5]
	;; [unrolled: 1-line block ×6, first 2 shown]
	v_mov_b32_e32 v108, v1
	v_lshlrev_b64 v[117:118], 4, v[0:1]
	v_dual_mov_b32 v116, v1 :: v_dual_lshlrev_b32 v113, 1, v15
	v_fma_f64 v[17:18], v[41:42], s[0:1], v[31:32]
	v_fma_f64 v[21:22], v[41:42], s[0:1], v[33:34]
	;; [unrolled: 1-line block ×4, first 2 shown]
	v_add_nc_u32_e32 v115, 0x4e, v0
	v_fma_f64 v[25:26], v[75:76], s[0:1], v[53:54]
	v_fma_f64 v[27:28], v[86:87], s[0:1], v[59:60]
	;; [unrolled: 1-line block ×4, first 2 shown]
	v_lshlrev_b64 v[65:66], 4, v[107:108]
	v_fma_f64 v[33:34], v[123:124], s[0:1], v[67:68]
	v_fma_f64 v[37:38], v[123:124], s[0:1], v[69:70]
	;; [unrolled: 1-line block ×16, first 2 shown]
	v_add_nc_u32_e32 v0, 0x68, v0
	v_lshlrev_b64 v[67:68], 4, v[113:114]
	v_add_co_u32 v73, s0, s4, v117
	s_delay_alu instid0(VALU_DEP_1)
	v_add_co_ci_u32_e64 v74, s0, s5, v118, s0
	v_lshlrev_b64 v[69:70], 4, v[115:116]
	v_add_co_u32 v65, s0, s4, v65
	v_lshlrev_b64 v[71:72], 4, v[0:1]
	v_lshlrev_b32_e32 v0, 4, v16
	v_add_co_ci_u32_e64 v66, s0, s5, v66, s0
	v_add_co_u32 v67, s0, s4, v67
	s_delay_alu instid0(VALU_DEP_1) | instskip(NEXT) | instid1(VALU_DEP_4)
	v_add_co_ci_u32_e64 v68, s0, s5, v68, s0
	v_add3_u32 v0, 0, v0, v253
	ds_store_b128 v85, v[2:5]
	ds_store_b128 v85, v[17:20] offset:208
	ds_store_b128 v85, v[25:28] offset:416
	;; [unrolled: 1-line block ×14, first 2 shown]
	s_waitcnt lgkmcnt(0)
	s_barrier
	buffer_gl0_inv
	s_clause 0x3
	global_load_b128 v[2:5], v[73:74], off offset:848
	global_load_b128 v[6:9], v[73:74], off offset:832
	;; [unrolled: 1-line block ×4, first 2 shown]
	v_add_co_u32 v31, s0, s4, v69
	s_delay_alu instid0(VALU_DEP_1)
	v_add_co_ci_u32_e64 v32, s0, s5, v70, s0
	v_add_co_u32 v39, s0, s4, v71
	s_clause 0x1
	global_load_b128 v[19:22], v[67:68], off offset:848
	global_load_b128 v[23:26], v[67:68], off offset:832
	v_add_co_ci_u32_e64 v40, s0, s5, v72, s0
	s_clause 0x3
	global_load_b128 v[27:30], v[31:32], off offset:832
	global_load_b128 v[31:34], v[31:32], off offset:848
	;; [unrolled: 1-line block ×4, first 2 shown]
	ds_load_b128 v[43:46], v85 offset:1040
	ds_load_b128 v[47:50], v85 offset:2080
	;; [unrolled: 1-line block ×10, first 2 shown]
	s_mov_b32 s0, 0xe8584caa
	s_mov_b32 s1, 0x3febb67a
	;; [unrolled: 1-line block ×4, first 2 shown]
	s_waitcnt vmcnt(9) lgkmcnt(8)
	v_mul_f64 v[88:89], v[49:50], v[4:5]
	s_waitcnt vmcnt(8)
	v_mul_f64 v[86:87], v[45:46], v[8:9]
	v_mul_f64 v[8:9], v[43:44], v[8:9]
	;; [unrolled: 1-line block ×3, first 2 shown]
	s_waitcnt vmcnt(6) lgkmcnt(7)
	v_mul_f64 v[90:91], v[53:54], v[17:18]
	v_mul_f64 v[17:18], v[51:52], v[17:18]
	s_waitcnt lgkmcnt(6)
	v_mul_f64 v[93:94], v[57:58], v[12:13]
	v_mul_f64 v[12:13], v[55:56], v[12:13]
	s_waitcnt vmcnt(5) lgkmcnt(4)
	v_mul_f64 v[97:98], v[65:66], v[21:22]
	s_waitcnt vmcnt(4)
	v_mul_f64 v[95:96], v[61:62], v[25:26]
	v_mul_f64 v[25:26], v[59:60], v[25:26]
	;; [unrolled: 1-line block ×3, first 2 shown]
	s_waitcnt vmcnt(3) lgkmcnt(3)
	v_mul_f64 v[99:100], v[69:70], v[29:30]
	v_mul_f64 v[29:30], v[67:68], v[29:30]
	s_waitcnt vmcnt(2) lgkmcnt(2)
	v_mul_f64 v[101:102], v[73:74], v[33:34]
	v_mul_f64 v[33:34], v[71:72], v[33:34]
	s_waitcnt vmcnt(1) lgkmcnt(1)
	v_mul_f64 v[103:104], v[77:78], v[37:38]
	s_waitcnt vmcnt(0) lgkmcnt(0)
	v_mul_f64 v[105:106], v[81:82], v[41:42]
	v_mul_f64 v[37:38], v[75:76], v[37:38]
	;; [unrolled: 1-line block ×3, first 2 shown]
	v_fma_f64 v[47:48], v[47:48], v[2:3], -v[88:89]
	v_fma_f64 v[43:44], v[43:44], v[6:7], -v[86:87]
	v_fma_f64 v[45:46], v[45:46], v[6:7], v[8:9]
	v_fma_f64 v[49:50], v[49:50], v[2:3], v[4:5]
	v_fma_f64 v[51:52], v[51:52], v[15:16], -v[90:91]
	v_fma_f64 v[53:54], v[53:54], v[15:16], v[17:18]
	v_fma_f64 v[55:56], v[55:56], v[10:11], -v[93:94]
	v_fma_f64 v[57:58], v[57:58], v[10:11], v[12:13]
	ds_load_b128 v[2:5], v92
	ds_load_b128 v[6:9], v14
	ds_load_b128 v[10:13], v85 offset:416
	v_fma_f64 v[59:60], v[59:60], v[23:24], -v[95:96]
	v_fma_f64 v[23:24], v[61:62], v[23:24], v[25:26]
	v_fma_f64 v[25:26], v[63:64], v[19:20], -v[97:98]
	v_fma_f64 v[61:62], v[65:66], v[19:20], v[21:22]
	;; [unrolled: 2-line block ×4, first 2 shown]
	v_fma_f64 v[33:34], v[75:76], v[35:36], -v[103:104]
	v_fma_f64 v[65:66], v[79:80], v[39:40], -v[105:106]
	v_fma_f64 v[35:36], v[77:78], v[35:36], v[37:38]
	v_fma_f64 v[37:38], v[81:82], v[39:40], v[41:42]
	ds_load_b128 v[15:18], v85 offset:624
	ds_load_b128 v[19:22], v85 offset:832
	s_waitcnt lgkmcnt(0)
	s_barrier
	buffer_gl0_inv
	v_add_f64 v[39:40], v[43:44], v[47:48]
	v_add_f64 v[86:87], v[2:3], v[43:44]
	v_add_f64 v[41:42], v[45:46], v[49:50]
	v_add_f64 v[88:89], v[45:46], -v[49:50]
	v_add_f64 v[45:46], v[4:5], v[45:46]
	v_add_f64 v[67:68], v[51:52], v[55:56]
	v_add_f64 v[69:70], v[53:54], v[57:58]
	v_add_f64 v[43:44], v[43:44], -v[47:48]
	;; [unrolled: 4-line block ×3, first 2 shown]
	v_add_f64 v[71:72], v[59:60], v[25:26]
	v_add_f64 v[73:74], v[23:24], v[61:62]
	;; [unrolled: 1-line block ×6, first 2 shown]
	v_add_f64 v[51:52], v[51:52], -v[55:56]
	v_add_f64 v[79:80], v[33:34], v[65:66]
	v_add_f64 v[105:106], v[21:22], v[35:36]
	;; [unrolled: 1-line block ×4, first 2 shown]
	v_add_f64 v[107:108], v[23:24], -v[61:62]
	v_add_f64 v[59:60], v[59:60], -v[25:26]
	;; [unrolled: 1-line block ×4, first 2 shown]
	v_add_f64 v[103:104], v[19:20], v[33:34]
	v_add_f64 v[111:112], v[35:36], -v[37:38]
	v_add_f64 v[113:114], v[33:34], -v[65:66]
	v_fma_f64 v[39:40], v[39:40], -0.5, v[2:3]
	v_add_f64 v[2:3], v[86:87], v[47:48]
	v_fma_f64 v[41:42], v[41:42], -0.5, v[4:5]
	v_add_f64 v[4:5], v[45:46], v[49:50]
	v_fma_f64 v[67:68], v[67:68], -0.5, v[6:7]
	v_fma_f64 v[69:70], v[69:70], -0.5, v[8:9]
	v_add_f64 v[6:7], v[90:91], v[55:56]
	v_add_f64 v[8:9], v[93:94], v[57:58]
	v_fma_f64 v[71:72], v[71:72], -0.5, v[10:11]
	v_fma_f64 v[73:74], v[73:74], -0.5, v[12:13]
	v_add_f64 v[10:11], v[95:96], v[25:26]
	v_fma_f64 v[75:76], v[75:76], -0.5, v[15:16]
	v_fma_f64 v[77:78], v[77:78], -0.5, v[17:18]
	v_add_f64 v[15:16], v[99:100], v[29:30]
	v_fma_f64 v[79:80], v[79:80], -0.5, v[19:20]
	v_add_f64 v[17:18], v[101:102], v[31:32]
	;; [unrolled: 2-line block ×3, first 2 shown]
	v_add_f64 v[12:13], v[97:98], v[61:62]
	v_add_f64 v[19:20], v[103:104], v[65:66]
	v_fma_f64 v[23:24], v[88:89], s[0:1], v[39:40]
	v_fma_f64 v[27:28], v[88:89], s[2:3], v[39:40]
	;; [unrolled: 1-line block ×20, first 2 shown]
	ds_store_b128 v85, v[2:5]
	ds_store_b128 v85, v[23:26] offset:1040
	ds_store_b128 v85, v[27:30] offset:2080
	ds_store_b128 v14, v[6:9]
	ds_store_b128 v14, v[31:34] offset:1040
	ds_store_b128 v14, v[35:38] offset:2080
	;; [unrolled: 1-line block ×11, first 2 shown]
	s_waitcnt lgkmcnt(0)
	s_barrier
	buffer_gl0_inv
	s_and_saveexec_b32 s0, vcc_lo
	s_cbranch_execz .LBB0_17
; %bb.16:
	v_mov_b32_e32 v85, v1
	scratch_load_b64 v[0:1], off, off offset:4 ; 8-byte Folded Reload
	v_lshlrev_b64 v[60:61], 4, v[84:85]
	s_waitcnt vmcnt(0)
	v_add_co_u32 v62, vcc_lo, s8, v0
	v_add_co_ci_u32_e32 v63, vcc_lo, s9, v1, vcc_lo
	ds_load_b128 v[0:3], v92
	ds_load_b128 v[4:7], v92 offset:208
	ds_load_b128 v[8:11], v92 offset:416
	;; [unrolled: 1-line block ×14, first 2 shown]
	v_add_co_u32 v60, vcc_lo, v62, v60
	v_add_co_ci_u32_e32 v61, vcc_lo, v63, v61, vcc_lo
	s_waitcnt lgkmcnt(14)
	global_store_b128 v[60:61], v[0:3], off
	s_waitcnt lgkmcnt(13)
	global_store_b128 v[60:61], v[4:7], off offset:208
	s_waitcnt lgkmcnt(12)
	global_store_b128 v[60:61], v[8:11], off offset:416
	s_waitcnt lgkmcnt(11)
	global_store_b128 v[60:61], v[12:15], off offset:624
	s_waitcnt lgkmcnt(10)
	global_store_b128 v[60:61], v[16:19], off offset:832
	s_waitcnt lgkmcnt(9)
	global_store_b128 v[60:61], v[20:23], off offset:1040
	s_waitcnt lgkmcnt(8)
	global_store_b128 v[60:61], v[24:27], off offset:1248
	s_waitcnt lgkmcnt(7)
	global_store_b128 v[60:61], v[28:31], off offset:1456
	s_waitcnt lgkmcnt(6)
	global_store_b128 v[60:61], v[32:35], off offset:1664
	s_waitcnt lgkmcnt(5)
	global_store_b128 v[60:61], v[36:39], off offset:1872
	s_waitcnt lgkmcnt(4)
	global_store_b128 v[60:61], v[40:43], off offset:2080
	s_waitcnt lgkmcnt(3)
	global_store_b128 v[60:61], v[44:47], off offset:2288
	s_waitcnt lgkmcnt(2)
	global_store_b128 v[60:61], v[48:51], off offset:2496
	s_waitcnt lgkmcnt(1)
	global_store_b128 v[60:61], v[52:55], off offset:2704
	s_waitcnt lgkmcnt(0)
	global_store_b128 v[60:61], v[56:59], off offset:2912
.LBB0_17:
	s_nop 0
	s_sendmsg sendmsg(MSG_DEALLOC_VGPRS)
	s_endpgm
	.section	.rodata,"a",@progbits
	.p2align	6, 0x0
	.amdhsa_kernel fft_rtc_fwd_len195_factors_13_5_3_wgs_52_tpt_13_dp_ip_CI_unitstride_sbrr_dirReg
		.amdhsa_group_segment_fixed_size 0
		.amdhsa_private_segment_fixed_size 48
		.amdhsa_kernarg_size 88
		.amdhsa_user_sgpr_count 15
		.amdhsa_user_sgpr_dispatch_ptr 0
		.amdhsa_user_sgpr_queue_ptr 0
		.amdhsa_user_sgpr_kernarg_segment_ptr 1
		.amdhsa_user_sgpr_dispatch_id 0
		.amdhsa_user_sgpr_private_segment_size 0
		.amdhsa_wavefront_size32 1
		.amdhsa_uses_dynamic_stack 0
		.amdhsa_enable_private_segment 1
		.amdhsa_system_sgpr_workgroup_id_x 1
		.amdhsa_system_sgpr_workgroup_id_y 0
		.amdhsa_system_sgpr_workgroup_id_z 0
		.amdhsa_system_sgpr_workgroup_info 0
		.amdhsa_system_vgpr_workitem_id 0
		.amdhsa_next_free_vgpr 256
		.amdhsa_next_free_sgpr 44
		.amdhsa_reserve_vcc 1
		.amdhsa_float_round_mode_32 0
		.amdhsa_float_round_mode_16_64 0
		.amdhsa_float_denorm_mode_32 3
		.amdhsa_float_denorm_mode_16_64 3
		.amdhsa_dx10_clamp 1
		.amdhsa_ieee_mode 1
		.amdhsa_fp16_overflow 0
		.amdhsa_workgroup_processor_mode 1
		.amdhsa_memory_ordered 1
		.amdhsa_forward_progress 0
		.amdhsa_shared_vgpr_count 0
		.amdhsa_exception_fp_ieee_invalid_op 0
		.amdhsa_exception_fp_denorm_src 0
		.amdhsa_exception_fp_ieee_div_zero 0
		.amdhsa_exception_fp_ieee_overflow 0
		.amdhsa_exception_fp_ieee_underflow 0
		.amdhsa_exception_fp_ieee_inexact 0
		.amdhsa_exception_int_div_zero 0
	.end_amdhsa_kernel
	.text
.Lfunc_end0:
	.size	fft_rtc_fwd_len195_factors_13_5_3_wgs_52_tpt_13_dp_ip_CI_unitstride_sbrr_dirReg, .Lfunc_end0-fft_rtc_fwd_len195_factors_13_5_3_wgs_52_tpt_13_dp_ip_CI_unitstride_sbrr_dirReg
                                        ; -- End function
	.section	.AMDGPU.csdata,"",@progbits
; Kernel info:
; codeLenInByte = 13412
; NumSgprs: 46
; NumVgprs: 256
; ScratchSize: 48
; MemoryBound: 0
; FloatMode: 240
; IeeeMode: 1
; LDSByteSize: 0 bytes/workgroup (compile time only)
; SGPRBlocks: 5
; VGPRBlocks: 31
; NumSGPRsForWavesPerEU: 46
; NumVGPRsForWavesPerEU: 256
; Occupancy: 5
; WaveLimiterHint : 1
; COMPUTE_PGM_RSRC2:SCRATCH_EN: 1
; COMPUTE_PGM_RSRC2:USER_SGPR: 15
; COMPUTE_PGM_RSRC2:TRAP_HANDLER: 0
; COMPUTE_PGM_RSRC2:TGID_X_EN: 1
; COMPUTE_PGM_RSRC2:TGID_Y_EN: 0
; COMPUTE_PGM_RSRC2:TGID_Z_EN: 0
; COMPUTE_PGM_RSRC2:TIDIG_COMP_CNT: 0
	.text
	.p2alignl 7, 3214868480
	.fill 96, 4, 3214868480
	.type	__hip_cuid_23a435ccc9ff4d7c,@object ; @__hip_cuid_23a435ccc9ff4d7c
	.section	.bss,"aw",@nobits
	.globl	__hip_cuid_23a435ccc9ff4d7c
__hip_cuid_23a435ccc9ff4d7c:
	.byte	0                               ; 0x0
	.size	__hip_cuid_23a435ccc9ff4d7c, 1

	.ident	"AMD clang version 19.0.0git (https://github.com/RadeonOpenCompute/llvm-project roc-6.4.0 25133 c7fe45cf4b819c5991fe208aaa96edf142730f1d)"
	.section	".note.GNU-stack","",@progbits
	.addrsig
	.addrsig_sym __hip_cuid_23a435ccc9ff4d7c
	.amdgpu_metadata
---
amdhsa.kernels:
  - .args:
      - .actual_access:  read_only
        .address_space:  global
        .offset:         0
        .size:           8
        .value_kind:     global_buffer
      - .offset:         8
        .size:           8
        .value_kind:     by_value
      - .actual_access:  read_only
        .address_space:  global
        .offset:         16
        .size:           8
        .value_kind:     global_buffer
      - .actual_access:  read_only
        .address_space:  global
        .offset:         24
        .size:           8
        .value_kind:     global_buffer
      - .offset:         32
        .size:           8
        .value_kind:     by_value
      - .actual_access:  read_only
        .address_space:  global
        .offset:         40
        .size:           8
        .value_kind:     global_buffer
      - .actual_access:  read_only
        .address_space:  global
        .offset:         48
        .size:           8
        .value_kind:     global_buffer
      - .offset:         56
        .size:           4
        .value_kind:     by_value
      - .actual_access:  read_only
        .address_space:  global
        .offset:         64
        .size:           8
        .value_kind:     global_buffer
      - .actual_access:  read_only
        .address_space:  global
        .offset:         72
        .size:           8
        .value_kind:     global_buffer
      - .address_space:  global
        .offset:         80
        .size:           8
        .value_kind:     global_buffer
    .group_segment_fixed_size: 0
    .kernarg_segment_align: 8
    .kernarg_segment_size: 88
    .language:       OpenCL C
    .language_version:
      - 2
      - 0
    .max_flat_workgroup_size: 52
    .name:           fft_rtc_fwd_len195_factors_13_5_3_wgs_52_tpt_13_dp_ip_CI_unitstride_sbrr_dirReg
    .private_segment_fixed_size: 48
    .sgpr_count:     46
    .sgpr_spill_count: 0
    .symbol:         fft_rtc_fwd_len195_factors_13_5_3_wgs_52_tpt_13_dp_ip_CI_unitstride_sbrr_dirReg.kd
    .uniform_work_group_size: 1
    .uses_dynamic_stack: false
    .vgpr_count:     256
    .vgpr_spill_count: 12
    .wavefront_size: 32
    .workgroup_processor_mode: 1
amdhsa.target:   amdgcn-amd-amdhsa--gfx1100
amdhsa.version:
  - 1
  - 2
...

	.end_amdgpu_metadata
